;; amdgpu-corpus repo=ROCm/rocFFT kind=compiled arch=gfx950 opt=O3
	.text
	.amdgcn_target "amdgcn-amd-amdhsa--gfx950"
	.amdhsa_code_object_version 6
	.protected	fft_rtc_back_len3072_factors_6_4_4_4_4_2_wgs_256_tpt_256_halfLds_sp_op_CI_CI_sbrr_dirReg ; -- Begin function fft_rtc_back_len3072_factors_6_4_4_4_4_2_wgs_256_tpt_256_halfLds_sp_op_CI_CI_sbrr_dirReg
	.globl	fft_rtc_back_len3072_factors_6_4_4_4_4_2_wgs_256_tpt_256_halfLds_sp_op_CI_CI_sbrr_dirReg
	.p2align	8
	.type	fft_rtc_back_len3072_factors_6_4_4_4_4_2_wgs_256_tpt_256_halfLds_sp_op_CI_CI_sbrr_dirReg,@function
fft_rtc_back_len3072_factors_6_4_4_4_4_2_wgs_256_tpt_256_halfLds_sp_op_CI_CI_sbrr_dirReg: ; @fft_rtc_back_len3072_factors_6_4_4_4_4_2_wgs_256_tpt_256_halfLds_sp_op_CI_CI_sbrr_dirReg
; %bb.0:
	s_load_dwordx4 s[12:15], s[0:1], 0x18
	s_load_dwordx4 s[8:11], s[0:1], 0x0
	;; [unrolled: 1-line block ×3, first 2 shown]
	v_mov_b32_e32 v8, s2
	v_mov_b32_e32 v6, 0
	s_waitcnt lgkmcnt(0)
	s_load_dwordx2 s[18:19], s[12:13], 0x0
	s_load_dwordx2 s[16:17], s[14:15], 0x0
	v_cmp_lt_u64_e64 s[2:3], s[10:11], 2
	v_mov_b32_e32 v9, v6
	s_and_b64 vcc, exec, s[2:3]
	v_mov_b64_e32 v[26:27], 0
	s_cbranch_vccnz .LBB0_8
; %bb.1:
	s_load_dwordx2 s[2:3], s[0:1], 0x10
	s_add_u32 s20, s14, 8
	s_addc_u32 s21, s15, 0
	s_add_u32 s22, s12, 8
	s_addc_u32 s23, s13, 0
	s_waitcnt lgkmcnt(0)
	s_add_u32 s24, s2, 8
	v_mov_b64_e32 v[26:27], 0
	s_addc_u32 s25, s3, 0
	s_mov_b64 s[26:27], 1
	v_mov_b64_e32 v[2:3], v[26:27]
.LBB0_2:                                ; =>This Inner Loop Header: Depth=1
	s_load_dwordx2 s[28:29], s[24:25], 0x0
                                        ; implicit-def: $vgpr4_vgpr5
	s_waitcnt lgkmcnt(0)
	v_or_b32_e32 v7, s29, v9
	v_cmp_ne_u64_e32 vcc, 0, v[6:7]
	s_and_saveexec_b64 s[2:3], vcc
	s_xor_b64 s[30:31], exec, s[2:3]
	s_cbranch_execz .LBB0_4
; %bb.3:                                ;   in Loop: Header=BB0_2 Depth=1
	v_cvt_f32_u32_e32 v1, s28
	v_cvt_f32_u32_e32 v4, s29
	s_sub_u32 s2, 0, s28
	s_subb_u32 s3, 0, s29
	v_fmac_f32_e32 v1, 0x4f800000, v4
	v_rcp_f32_e32 v1, v1
	s_nop 0
	v_mul_f32_e32 v1, 0x5f7ffffc, v1
	v_mul_f32_e32 v4, 0x2f800000, v1
	v_trunc_f32_e32 v4, v4
	v_fmac_f32_e32 v1, 0xcf800000, v4
	v_cvt_u32_f32_e32 v7, v4
	v_cvt_u32_f32_e32 v1, v1
	v_mul_lo_u32 v4, s2, v7
	v_mul_hi_u32 v10, s2, v1
	v_mul_lo_u32 v5, s3, v1
	v_add_u32_e32 v10, v10, v4
	v_mul_lo_u32 v12, s2, v1
	v_add_u32_e32 v13, v10, v5
	v_mul_hi_u32 v4, v1, v12
	v_mul_hi_u32 v11, v1, v13
	v_mul_lo_u32 v10, v1, v13
	v_mov_b32_e32 v5, v6
	v_lshl_add_u64 v[4:5], v[4:5], 0, v[10:11]
	v_mul_hi_u32 v11, v7, v12
	v_mul_lo_u32 v12, v7, v12
	v_add_co_u32_e32 v4, vcc, v4, v12
	v_mul_hi_u32 v10, v7, v13
	s_nop 0
	v_addc_co_u32_e32 v4, vcc, v5, v11, vcc
	v_mov_b32_e32 v5, v6
	s_nop 0
	v_addc_co_u32_e32 v11, vcc, 0, v10, vcc
	v_mul_lo_u32 v10, v7, v13
	v_lshl_add_u64 v[4:5], v[4:5], 0, v[10:11]
	v_add_co_u32_e32 v1, vcc, v1, v4
	v_mul_lo_u32 v10, s2, v1
	s_nop 0
	v_addc_co_u32_e32 v7, vcc, v7, v5, vcc
	v_mul_lo_u32 v4, s2, v7
	v_mul_hi_u32 v5, s2, v1
	v_add_u32_e32 v4, v5, v4
	v_mul_lo_u32 v5, s3, v1
	v_add_u32_e32 v12, v4, v5
	v_mul_hi_u32 v14, v7, v10
	v_mul_lo_u32 v15, v7, v10
	v_mul_hi_u32 v5, v1, v12
	v_mul_lo_u32 v4, v1, v12
	v_mul_hi_u32 v10, v1, v10
	v_mov_b32_e32 v11, v6
	v_lshl_add_u64 v[4:5], v[10:11], 0, v[4:5]
	v_add_co_u32_e32 v4, vcc, v4, v15
	v_mul_hi_u32 v13, v7, v12
	s_nop 0
	v_addc_co_u32_e32 v4, vcc, v5, v14, vcc
	v_mul_lo_u32 v10, v7, v12
	s_nop 0
	v_addc_co_u32_e32 v11, vcc, 0, v13, vcc
	v_mov_b32_e32 v5, v6
	v_lshl_add_u64 v[4:5], v[4:5], 0, v[10:11]
	v_add_co_u32_e32 v1, vcc, v1, v4
	v_mul_hi_u32 v10, v8, v1
	s_nop 0
	v_addc_co_u32_e32 v7, vcc, v7, v5, vcc
	v_mad_u64_u32 v[4:5], s[2:3], v8, v7, 0
	v_mov_b32_e32 v11, v6
	v_lshl_add_u64 v[4:5], v[10:11], 0, v[4:5]
	v_mad_u64_u32 v[12:13], s[2:3], v9, v1, 0
	v_add_co_u32_e32 v1, vcc, v4, v12
	v_mad_u64_u32 v[10:11], s[2:3], v9, v7, 0
	s_nop 0
	v_addc_co_u32_e32 v4, vcc, v5, v13, vcc
	v_mov_b32_e32 v5, v6
	s_nop 0
	v_addc_co_u32_e32 v11, vcc, 0, v11, vcc
	v_lshl_add_u64 v[4:5], v[4:5], 0, v[10:11]
	v_mul_lo_u32 v1, s29, v4
	v_mul_lo_u32 v7, s28, v5
	v_mad_u64_u32 v[10:11], s[2:3], s28, v4, 0
	v_add3_u32 v1, v11, v7, v1
	v_sub_u32_e32 v7, v9, v1
	v_mov_b32_e32 v11, s29
	v_sub_co_u32_e32 v14, vcc, v8, v10
	v_lshl_add_u64 v[12:13], v[4:5], 0, 1
	s_nop 0
	v_subb_co_u32_e64 v7, s[2:3], v7, v11, vcc
	v_subrev_co_u32_e64 v10, s[2:3], s28, v14
	v_subb_co_u32_e32 v1, vcc, v9, v1, vcc
	s_nop 0
	v_subbrev_co_u32_e64 v7, s[2:3], 0, v7, s[2:3]
	v_cmp_le_u32_e64 s[2:3], s29, v7
	v_cmp_le_u32_e32 vcc, s29, v1
	s_nop 0
	v_cndmask_b32_e64 v11, 0, -1, s[2:3]
	v_cmp_le_u32_e64 s[2:3], s28, v10
	s_nop 1
	v_cndmask_b32_e64 v10, 0, -1, s[2:3]
	v_cmp_eq_u32_e64 s[2:3], s29, v7
	s_nop 1
	v_cndmask_b32_e64 v7, v11, v10, s[2:3]
	v_lshl_add_u64 v[10:11], v[4:5], 0, 2
	v_cmp_ne_u32_e64 s[2:3], 0, v7
	s_nop 1
	v_cndmask_b32_e64 v7, v13, v11, s[2:3]
	v_cndmask_b32_e64 v11, 0, -1, vcc
	v_cmp_le_u32_e32 vcc, s28, v14
	s_nop 1
	v_cndmask_b32_e64 v13, 0, -1, vcc
	v_cmp_eq_u32_e32 vcc, s29, v1
	s_nop 1
	v_cndmask_b32_e32 v1, v11, v13, vcc
	v_cmp_ne_u32_e32 vcc, 0, v1
	v_cndmask_b32_e64 v1, v12, v10, s[2:3]
	s_nop 0
	v_cndmask_b32_e32 v5, v5, v7, vcc
	v_cndmask_b32_e32 v4, v4, v1, vcc
.LBB0_4:                                ;   in Loop: Header=BB0_2 Depth=1
	s_andn2_saveexec_b64 s[2:3], s[30:31]
	s_cbranch_execz .LBB0_6
; %bb.5:                                ;   in Loop: Header=BB0_2 Depth=1
	v_cvt_f32_u32_e32 v1, s28
	s_sub_i32 s30, 0, s28
	v_rcp_iflag_f32_e32 v1, v1
	s_nop 0
	v_mul_f32_e32 v1, 0x4f7ffffe, v1
	v_cvt_u32_f32_e32 v1, v1
	v_mul_lo_u32 v4, s30, v1
	v_mul_hi_u32 v4, v1, v4
	v_add_u32_e32 v1, v1, v4
	v_mul_hi_u32 v1, v8, v1
	v_mul_lo_u32 v4, v1, s28
	v_sub_u32_e32 v4, v8, v4
	v_add_u32_e32 v5, 1, v1
	v_subrev_u32_e32 v7, s28, v4
	v_cmp_le_u32_e32 vcc, s28, v4
	s_nop 1
	v_cndmask_b32_e32 v4, v4, v7, vcc
	v_cndmask_b32_e32 v1, v1, v5, vcc
	v_add_u32_e32 v5, 1, v1
	v_cmp_le_u32_e32 vcc, s28, v4
	s_nop 1
	v_cndmask_b32_e32 v4, v1, v5, vcc
	v_mov_b32_e32 v5, v6
.LBB0_6:                                ;   in Loop: Header=BB0_2 Depth=1
	s_or_b64 exec, exec, s[2:3]
	v_mad_u64_u32 v[10:11], s[2:3], v4, s28, 0
	s_load_dwordx2 s[2:3], s[22:23], 0x0
	v_mul_lo_u32 v1, v5, s28
	v_mul_lo_u32 v7, v4, s29
	s_load_dwordx2 s[28:29], s[20:21], 0x0
	s_add_u32 s26, s26, 1
	v_add3_u32 v1, v11, v7, v1
	v_sub_co_u32_e32 v7, vcc, v8, v10
	s_addc_u32 s27, s27, 0
	s_nop 0
	v_subb_co_u32_e32 v1, vcc, v9, v1, vcc
	s_add_u32 s20, s20, 8
	s_waitcnt lgkmcnt(0)
	v_mul_lo_u32 v8, s2, v1
	v_mul_lo_u32 v9, s3, v7
	v_mad_u64_u32 v[26:27], s[2:3], s2, v7, v[26:27]
	s_addc_u32 s21, s21, 0
	v_add3_u32 v27, v9, v27, v8
	v_mul_lo_u32 v1, s28, v1
	v_mul_lo_u32 v8, s29, v7
	v_mad_u64_u32 v[2:3], s[2:3], s28, v7, v[2:3]
	s_add_u32 s22, s22, 8
	v_add3_u32 v3, v8, v3, v1
	s_addc_u32 s23, s23, 0
	v_mov_b64_e32 v[8:9], s[10:11]
	s_add_u32 s24, s24, 8
	v_cmp_ge_u64_e32 vcc, s[26:27], v[8:9]
	s_addc_u32 s25, s25, 0
	s_cbranch_vccnz .LBB0_9
; %bb.7:                                ;   in Loop: Header=BB0_2 Depth=1
	v_mov_b64_e32 v[8:9], v[4:5]
	s_branch .LBB0_2
.LBB0_8:
	v_mov_b64_e32 v[2:3], v[26:27]
	v_mov_b64_e32 v[4:5], v[8:9]
.LBB0_9:
	s_load_dwordx2 s[0:1], s[0:1], 0x28
	s_lshl_b64 s[10:11], s[10:11], 3
	s_add_u32 s2, s14, s10
	s_addc_u32 s3, s15, s11
                                        ; implicit-def: $vgpr14
                                        ; implicit-def: $vgpr10
                                        ; implicit-def: $vgpr6
                                        ; implicit-def: $vgpr8
                                        ; implicit-def: $vgpr12
	s_waitcnt lgkmcnt(0)
	v_cmp_gt_u64_e32 vcc, s[0:1], v[4:5]
	v_cmp_le_u64_e64 s[0:1], s[0:1], v[4:5]
	s_and_saveexec_b64 s[14:15], s[0:1]
	s_xor_b64 s[0:1], exec, s[14:15]
; %bb.10:
	v_or_b32_e32 v14, 0x100, v0
	v_or_b32_e32 v10, 0x300, v0
	;; [unrolled: 1-line block ×5, first 2 shown]
                                        ; implicit-def: $vgpr26_vgpr27
; %bb.11:
	s_or_saveexec_b64 s[0:1], s[0:1]
                                        ; implicit-def: $vgpr40
                                        ; implicit-def: $vgpr34
                                        ; implicit-def: $vgpr38
                                        ; implicit-def: $vgpr16
                                        ; implicit-def: $vgpr28
                                        ; implicit-def: $vgpr24
                                        ; implicit-def: $vgpr32
                                        ; implicit-def: $vgpr30
                                        ; implicit-def: $vgpr22
                                        ; implicit-def: $vgpr42
                                        ; implicit-def: $vgpr20
                                        ; implicit-def: $vgpr18
                                        ; implicit-def: $vgpr36
                                        ; implicit-def: $vgpr44
	s_xor_b64 exec, exec, s[0:1]
	s_cbranch_execz .LBB0_13
; %bb.12:
	s_add_u32 s10, s12, s10
	s_addc_u32 s11, s13, s11
	s_load_dwordx2 s[10:11], s[10:11], 0x0
	s_waitcnt lgkmcnt(0)
	v_mul_lo_u32 v1, s11, v4
	v_mul_lo_u32 v8, s10, v5
	v_mad_u64_u32 v[6:7], s[10:11], s10, v4, 0
	v_add3_u32 v7, v7, v8, v1
	v_mad_u64_u32 v[8:9], s[10:11], s18, v0, 0
	v_mov_b32_e32 v10, v9
	v_mad_u64_u32 v[10:11], s[10:11], s19, v0, v[10:11]
	v_lshl_add_u64 v[6:7], v[6:7], 3, s[4:5]
	v_mov_b32_e32 v9, v10
	v_lshl_add_u64 v[18:19], v[26:27], 3, v[6:7]
	v_or_b32_e32 v6, 0x200, v0
	v_lshl_add_u64 v[10:11], v[8:9], 3, v[18:19]
	v_mad_u64_u32 v[8:9], s[4:5], s18, v6, 0
	v_mov_b32_e32 v12, v9
	v_mad_u64_u32 v[12:13], s[4:5], s19, v6, v[12:13]
	v_mov_b32_e32 v9, v12
	v_lshl_add_u64 v[12:13], v[8:9], 3, v[18:19]
	v_or_b32_e32 v8, 0x400, v0
	v_mad_u64_u32 v[14:15], s[4:5], s18, v8, 0
	v_mov_b32_e32 v16, v15
	v_mad_u64_u32 v[16:17], s[4:5], s19, v8, v[16:17]
	v_or_b32_e32 v1, 0x600, v0
	v_mov_b32_e32 v15, v16
	v_mad_u64_u32 v[16:17], s[4:5], s18, v1, 0
	v_mov_b32_e32 v20, v17
	v_mad_u64_u32 v[20:21], s[4:5], s19, v1, v[20:21]
	v_mov_b32_e32 v17, v20
	v_or_b32_e32 v1, 0x800, v0
	v_lshl_add_u64 v[14:15], v[14:15], 3, v[18:19]
	v_lshl_add_u64 v[20:21], v[16:17], 3, v[18:19]
	global_load_dwordx2 v[40:41], v[10:11], off
	global_load_dwordx2 v[38:39], v[12:13], off
	global_load_dwordx2 v[16:17], v[14:15], off
	global_load_dwordx2 v[44:45], v[20:21], off
	v_mad_u64_u32 v[10:11], s[4:5], s18, v1, 0
	v_mov_b32_e32 v12, v11
	v_mad_u64_u32 v[12:13], s[4:5], s19, v1, v[12:13]
	v_mov_b32_e32 v11, v12
	v_or_b32_e32 v1, 0xa00, v0
	v_lshl_add_u64 v[12:13], v[10:11], 3, v[18:19]
	v_mad_u64_u32 v[10:11], s[4:5], s18, v1, 0
	v_mov_b32_e32 v14, v11
	v_mad_u64_u32 v[14:15], s[4:5], s19, v1, v[14:15]
	v_mov_b32_e32 v11, v14
	v_or_b32_e32 v14, 0x100, v0
	v_lshl_add_u64 v[20:21], v[10:11], 3, v[18:19]
	v_mad_u64_u32 v[10:11], s[4:5], s18, v14, 0
	v_mov_b32_e32 v22, v11
	v_mad_u64_u32 v[22:23], s[4:5], s19, v14, v[22:23]
	v_mov_b32_e32 v11, v22
	v_lshl_add_u64 v[22:23], v[10:11], 3, v[18:19]
	v_or_b32_e32 v10, 0x300, v0
	v_mad_u64_u32 v[24:25], s[4:5], s18, v10, 0
	v_mov_b32_e32 v26, v25
	v_mad_u64_u32 v[26:27], s[4:5], s19, v10, v[26:27]
	v_mov_b32_e32 v25, v26
	v_lshl_add_u64 v[26:27], v[24:25], 3, v[18:19]
	global_load_dwordx2 v[28:29], v[12:13], off
	global_load_dwordx2 v[24:25], v[20:21], off
	;; [unrolled: 1-line block ×4, first 2 shown]
	v_or_b32_e32 v12, 0x500, v0
	v_mad_u64_u32 v[20:21], s[4:5], s18, v12, 0
	v_mov_b32_e32 v22, v21
	v_mad_u64_u32 v[22:23], s[4:5], s19, v12, v[22:23]
	v_mov_b32_e32 v21, v22
	v_or_b32_e32 v1, 0x700, v0
	v_lshl_add_u64 v[26:27], v[20:21], 3, v[18:19]
	v_mad_u64_u32 v[20:21], s[4:5], s18, v1, 0
	v_mov_b32_e32 v22, v21
	v_mad_u64_u32 v[22:23], s[4:5], s19, v1, v[22:23]
	v_mov_b32_e32 v21, v22
	v_or_b32_e32 v1, 0x900, v0
	v_lshl_add_u64 v[30:31], v[20:21], 3, v[18:19]
	;; [unrolled: 6-line block ×3, first 2 shown]
	v_mad_u64_u32 v[20:21], s[4:5], s18, v1, 0
	v_mov_b32_e32 v22, v21
	v_mad_u64_u32 v[22:23], s[4:5], s19, v1, v[22:23]
	v_mov_b32_e32 v21, v22
	v_lshl_add_u64 v[46:47], v[20:21], 3, v[18:19]
	global_load_dwordx2 v[22:23], v[26:27], off
	global_load_dwordx2 v[42:43], v[30:31], off
	;; [unrolled: 1-line block ×4, first 2 shown]
	s_waitcnt vmcnt(11)
	v_mov_b32_e32 v34, v41
	s_waitcnt vmcnt(5)
	v_mov_b32_e32 v30, v33
.LBB0_13:
	s_or_b64 exec, exec, s[0:1]
	v_pk_add_f32 v[26:27], v[16:17], v[28:29]
	v_pk_add_f32 v[48:49], v[16:17], v[28:29] neg_lo:[0,1] neg_hi:[0,1]
	v_mul_f32_e32 v47, 0.5, v26
	v_pk_add_f32 v[54:55], v[24:25], v[44:45]
	v_mov_b32_e32 v46, v16
	v_mul_f32_e32 v51, 0x3f5db3d7, v49
	v_pk_add_f32 v[52:53], v[38:39], v[44:45]
	v_fmac_f32_e32 v38, -0.5, v54
	v_pk_add_f32 v[44:45], v[44:45], v[24:25] neg_lo:[0,1] neg_hi:[0,1]
	v_fmac_f32_e32 v39, -0.5, v55
	v_pk_add_f32 v[54:55], v[40:41], v[16:17]
	v_pk_add_f32 v[40:41], v[40:41], v[46:47] op_sel_hi:[0,1] neg_lo:[0,1] neg_hi:[0,1]
	v_mov_b32_e32 v50, v28
	v_mul_f32_e32 v26, 0x3f5db3d7, v45
	v_mul_f32_e32 v44, 0x3f5db3d7, v44
	v_pk_add_f32 v[46:47], v[54:55], v[28:29]
	v_pk_add_f32 v[54:55], v[40:41], v[50:51] neg_lo:[0,1] neg_hi:[0,1]
	v_mov_b32_e32 v50, v51
	v_mov_b32_e32 v51, v52
	;; [unrolled: 1-line block ×5, first 2 shown]
	v_pk_add_f32 v[40:41], v[50:51], v[40:41]
	v_pk_add_f32 v[50:51], v[38:39], v[26:27] op_sel_hi:[0,0] neg_lo:[0,1] neg_hi:[0,1]
	v_pk_add_f32 v[56:57], v[38:39], v[26:27] op_sel_hi:[0,0]
	v_pk_add_f32 v[38:39], v[16:17], v[44:45] op_sel_hi:[0,0]
	v_pk_add_f32 v[44:45], v[16:17], v[44:45] op_sel_hi:[0,0] neg_lo:[0,1] neg_hi:[0,1]
	s_mov_b32 s0, 0.5
	s_mov_b32 s4, 0x3f5db3d7
	v_mov_b32_e32 v39, v45
	s_mov_b32 s1, -0.5
	v_mov_b32_e32 v51, v57
	v_pk_mul_f32 v[58:59], v[38:39], s[4:5] op_sel_hi:[1,0]
	v_mov_b32_e32 v47, v55
	v_pk_fma_f32 v[58:59], v[50:51], s[0:1], v[58:59] neg_lo:[0,0,1] neg_hi:[0,0,1]
	v_mov_b32_e32 v1, v46
	v_mov_b32_e32 v60, v41
	;; [unrolled: 1-line block ×4, first 2 shown]
	v_pk_add_f32 v[46:47], v[46:47], v[60:61]
	v_pk_add_f32 v[60:61], v[16:17], v[40:41]
	v_pk_add_f32 v[62:63], v[0:1], v[40:41] neg_lo:[0,1] neg_hi:[0,1]
	v_mad_u32_u24 v11, v0, 24, 0
	v_mov_b32_e32 v61, v63
	ds_write2_b64 v11, v[46:47], v[60:61] offset1:1
	s_waitcnt vmcnt(0)
	v_pk_add_f32 v[60:61], v[42:43], v[18:19]
	v_pk_add_f32 v[46:47], v[42:43], v[36:37]
	v_fmac_f32_e32 v36, -0.5, v60
	v_fmac_f32_e32 v37, -0.5, v61
	v_pk_add_f32 v[60:61], v[22:23], v[20:21]
	v_mov_b32_e32 v54, v55
	v_mov_b32_e32 v55, v40
	v_mul_f32_e32 v41, 0.5, v60
	v_pk_add_f32 v[54:55], v[54:55], v[58:59] neg_lo:[0,1] neg_hi:[0,1]
	v_pk_add_f32 v[58:59], v[22:23], v[20:21] neg_lo:[0,1] neg_hi:[0,1]
	v_mov_b32_e32 v40, v22
	ds_write_b64 v11, v[54:55] offset:16
	v_mul_f32_e32 v55, 0x3f5db3d7, v59
	v_pk_add_f32 v[40:41], v[32:33], v[40:41] op_sel_hi:[0,1] neg_lo:[0,1] neg_hi:[0,1]
	v_mov_b32_e32 v54, v20
	v_pk_add_f32 v[42:43], v[42:43], v[18:19] neg_lo:[0,1] neg_hi:[0,1]
	v_pk_add_f32 v[62:63], v[40:41], v[54:55] neg_lo:[0,1] neg_hi:[0,1]
	v_mov_b32_e32 v54, v55
	v_mov_b32_e32 v55, v46
	;; [unrolled: 1-line block ×4, first 2 shown]
	v_mul_f32_e32 v16, 0x3f5db3d7, v43
	v_pk_add_f32 v[40:41], v[54:55], v[40:41]
	v_mul_f32_e32 v18, 0x3f5db3d7, v42
	v_pk_add_f32 v[42:43], v[36:37], v[16:17] op_sel_hi:[0,0] neg_lo:[0,1] neg_hi:[0,1]
	v_pk_add_f32 v[54:55], v[36:37], v[16:17] op_sel_hi:[0,0]
	v_mov_b32_e32 v16, v37
	v_pk_add_f32 v[64:65], v[16:17], v[18:19] op_sel_hi:[0,0]
	v_pk_add_f32 v[36:37], v[16:17], v[18:19] op_sel_hi:[0,0] neg_lo:[0,1] neg_hi:[0,1]
	v_mov_b32_e32 v65, v37
	v_pk_add_f32 v[32:33], v[32:33], v[22:23]
	v_mov_b32_e32 v43, v55
	v_pk_mul_f32 v[66:67], v[64:65], s[4:5] op_sel_hi:[1,0]
	v_pk_add_f32 v[32:33], v[32:33], v[20:21]
	v_pk_fma_f32 v[66:67], v[42:43], s[0:1], v[66:67] neg_lo:[0,0,1] neg_hi:[0,0,1]
	v_mov_b32_e32 v33, v63
	v_mov_b32_e32 v68, v41
	;; [unrolled: 1-line block ×5, first 2 shown]
	v_pk_add_f32 v[68:69], v[32:33], v[68:69]
	v_pk_add_f32 v[70:71], v[16:17], v[40:41]
	v_pk_add_f32 v[32:33], v[0:1], v[40:41] neg_lo:[0,1] neg_hi:[0,1]
	v_mul_f32_e32 v16, -0.5, v45
	v_mov_b32_e32 v44, v63
	v_mov_b32_e32 v45, v40
	;; [unrolled: 1-line block ×3, first 2 shown]
	v_mad_i32_i24 v33, v14, 24, 0
	v_mul_f32_e32 v27, 0.5, v27
	v_pk_add_f32 v[40:41], v[44:45], v[66:67] neg_lo:[0,1] neg_hi:[0,1]
	v_mul_f32_e32 v35, 0x3f5db3d7, v48
	v_mov_b32_e32 v26, v17
	v_mov_b32_e32 v18, v17
	ds_write_b64 v33, v[40:41] offset:16
	v_pk_add_f32 v[40:41], v[34:35], v[18:19] op_sel_hi:[0,1]
	v_pk_add_f32 v[26:27], v[34:35], v[26:27] op_sel_hi:[0,1] neg_lo:[0,1] neg_hi:[0,1]
	v_mul_f32_e32 v39, 0x3f5db3d7, v50
	v_mul_f32_e32 v45, 0.5, v38
	v_mov_b32_e32 v34, v29
	v_mov_b32_e32 v41, v27
	;; [unrolled: 1-line block ×4, first 2 shown]
	v_pk_add_f32 v[34:35], v[40:41], v[34:35]
	v_fmac_f32_e32 v27, 0xbf5db3d7, v48
	v_pk_add_f32 v[24:25], v[44:45], v[38:39]
	v_fmac_f32_e32 v16, 0x3f5db3d7, v57
	v_mov_b32_e32 v38, v27
	v_mov_b32_e32 v39, v34
	v_mov_b32_e32 v17, v24
	s_movk_i32 s0, 0xffec
	v_pk_add_f32 v[38:39], v[38:39], v[16:17]
	v_pk_add_f32 v[44:45], v[34:35], v[24:25] op_sel:[1,1] op_sel_hi:[0,0] neg_lo:[0,1] neg_hi:[0,1]
	v_pk_add_f32 v[48:49], v[34:35], v[24:25]
	v_mul_f32_e32 v17, 0.5, v61
	v_mul_f32_e32 v31, 0x3f5db3d7, v58
	v_mov_b32_e32 v24, v25
	v_mov_b32_e32 v25, v16
	;; [unrolled: 1-line block ×4, first 2 shown]
	v_mad_i32_i24 v36, v0, s0, v11
	v_lshl_add_u32 v7, v10, 2, 0
	v_mad_i32_i24 v1, v14, s0, v33
	v_mov_b32_e32 v39, v45
	v_pk_add_f32 v[22:23], v[30:31], v[20:21] op_sel_hi:[0,1]
	v_pk_add_f32 v[16:17], v[30:31], v[16:17] op_sel_hi:[0,1] neg_lo:[0,1] neg_hi:[0,1]
	ds_write2_b64 v33, v[68:69], v[70:71] offset1:1
	s_load_dwordx2 s[2:3], s[2:3], 0x0
	s_waitcnt lgkmcnt(0)
	s_barrier
	ds_read2st64_b32 v[50:51], v36 offset1:16
	ds_read2st64_b32 v[56:57], v36 offset0:20 offset1:24
	ds_read2st64_b32 v[40:41], v36 offset0:36 offset1:40
	v_lshl_add_u32 v29, v6, 2, 0
	ds_read_b32 v13, v1
	ds_read_b32 v15, v29
	;; [unrolled: 1-line block ×3, first 2 shown]
	ds_read_b32 v32, v36 offset:11264
	ds_read2st64_b32 v[44:45], v36 offset0:28 offset1:32
	s_waitcnt lgkmcnt(0)
	s_barrier
	ds_write2_b64 v11, v[48:49], v[38:39] offset1:1
	v_mul_f32_e32 v18, -0.5, v37
	v_mul_f32_e32 v39, 0x3f5db3d7, v42
	v_mul_f32_e32 v43, 0.5, v64
	v_mov_b32_e32 v23, v17
	v_mov_b32_e32 v30, v21
	;; [unrolled: 1-line block ×4, first 2 shown]
	v_fmac_f32_e32 v18, 0x3f5db3d7, v55
	v_mov_b32_e32 v26, v35
	v_pk_add_f32 v[20:21], v[22:23], v[30:31]
	v_pk_add_f32 v[22:23], v[42:43], v[38:39]
	v_pk_add_f32 v[24:25], v[26:27], v[24:25] neg_lo:[0,1] neg_hi:[0,1]
	v_fmac_f32_e32 v17, 0xbf5db3d7, v58
	v_mov_b32_e32 v16, v21
	v_mov_b32_e32 v30, v23
	;; [unrolled: 1-line block ×3, first 2 shown]
	v_mul_lo_u16_e32 v9, 0xab, v0
	ds_write_b64 v11, v[24:25] offset:16
	v_mov_b32_e32 v26, v17
	v_pk_add_f32 v[16:17], v[16:17], v[30:31] neg_lo:[0,1] neg_hi:[0,1]
	v_lshrrev_b16_e32 v11, 10, v9
	ds_write_b64 v33, v[16:17] offset:16
	v_mul_lo_u16_e32 v16, 6, v11
	v_mov_b32_e32 v27, v20
	v_mov_b32_e32 v19, v22
	v_sub_u16_e32 v34, v0, v16
	v_mov_b32_e32 v37, 3
	v_pk_add_f32 v[24:25], v[20:21], v[22:23]
	v_pk_add_f32 v[26:27], v[26:27], v[18:19]
	v_pk_add_f32 v[20:21], v[20:21], v[22:23] op_sel:[1,1] op_sel_hi:[0,0] neg_lo:[0,1] neg_hi:[0,1]
	v_mul_u32_u24_sdwa v16, v34, v37 dst_sel:DWORD dst_unused:UNUSED_PAD src0_sel:BYTE_0 src1_sel:DWORD
	v_mov_b32_e32 v27, v21
	v_lshlrev_b32_e32 v30, 3, v16
	ds_write2_b64 v33, v[24:25], v[26:27] offset1:1
	s_waitcnt lgkmcnt(0)
	s_barrier
	global_load_dwordx4 v[16:19], v30, s[8:9]
	s_mov_b32 s0, 0xaaab
	v_mul_u32_u24_sdwa v52, v6, s0 dst_sel:DWORD dst_unused:UNUSED_PAD src0_sel:WORD_0 src1_sel:DWORD
	v_lshrrev_b32_e32 v35, 18, v52
	v_mul_lo_u16_e32 v20, 6, v35
	v_sub_u16_e32 v38, v6, v20
	v_mul_lo_u16_e32 v20, 3, v38
	v_lshlrev_b32_e32 v39, 3, v20
	global_load_dwordx4 v[20:23], v39, s[8:9]
	ds_read_b32 v26, v7
	ds_read2st64_b32 v[24:25], v36 offset0:20 offset1:24
	ds_read_b32 v42, v29
	ds_read_b32 v43, v36 offset:11264
	v_mul_u32_u24_sdwa v49, v14, s0 dst_sel:DWORD dst_unused:UNUSED_PAD src0_sel:WORD_0 src1_sel:DWORD
	v_lshrrev_b32_e32 v53, 18, v49
	global_load_dwordx2 v[30:31], v30, s[8:9] offset:16
	v_mul_u32_u24_e32 v11, 24, v11
	v_or_b32_sdwa v11, v11, v34 dst_sel:DWORD dst_unused:UNUSED_PAD src0_sel:DWORD src1_sel:BYTE_0
	v_lshl_add_u32 v11, v11, 2, 0
	s_movk_i32 s0, 0x180
	v_cmp_gt_u32_e64 s[0:1], s0, v14
	s_waitcnt vmcnt(2) lgkmcnt(3)
	v_mul_f32_e32 v46, v26, v17
	v_mul_f32_e32 v17, v28, v17
	v_fmac_f32_e32 v46, v28, v16
	v_fma_f32 v28, v26, v16, -v17
	v_mul_f32_e32 v16, v57, v19
	s_waitcnt lgkmcnt(2)
	v_fma_f32 v48, v25, v18, -v16
	v_mul_lo_u16_e32 v16, 6, v53
	v_sub_u16_e32 v54, v14, v16
	v_mul_lo_u16_e32 v16, 3, v54
	v_mul_f32_e32 v47, v25, v19
	v_lshlrev_b32_e32 v25, 3, v16
	v_fmac_f32_e32 v47, v57, v18
	global_load_dwordx4 v[16:19], v25, s[8:9]
	ds_read2st64_b32 v[26:27], v36 offset0:28 offset1:32
	s_waitcnt vmcnt(2)
	v_mul_f32_e32 v55, v24, v21
	v_mul_f32_e32 v21, v56, v21
	v_fmac_f32_e32 v55, v56, v20
	v_fma_f32 v56, v24, v20, -v21
	s_waitcnt lgkmcnt(0)
	v_mul_f32_e32 v57, v27, v23
	v_mul_f32_e32 v20, v45, v23
	v_fmac_f32_e32 v57, v45, v22
	v_fma_f32 v27, v27, v22, -v20
	global_load_dwordx2 v[20:21], v25, s[8:9] offset:16
	global_load_dwordx2 v[22:23], v39, s[8:9] offset:16
	ds_read2st64_b32 v[24:25], v36 offset1:16
	s_waitcnt vmcnt(2)
	v_mul_f32_e32 v39, v26, v19
	v_mul_f32_e32 v19, v44, v19
	v_fmac_f32_e32 v39, v44, v18
	v_fma_f32 v18, v26, v18, -v19
	s_waitcnt lgkmcnt(0)
	v_mul_f32_e32 v19, v25, v17
	v_mul_f32_e32 v17, v51, v17
	v_fmac_f32_e32 v19, v51, v16
	v_fma_f32 v25, v25, v16, -v17
	ds_read2st64_b32 v[16:17], v36 offset0:36 offset1:40
	s_waitcnt lgkmcnt(0)
	v_mul_f32_e32 v26, v16, v31
	v_mul_f32_e32 v31, v40, v31
	v_fmac_f32_e32 v26, v40, v30
	v_fma_f32 v16, v16, v30, -v31
	ds_read_b32 v30, v1
	s_waitcnt vmcnt(1)
	v_mul_f32_e32 v31, v17, v21
	v_mul_f32_e32 v21, v41, v21
	v_fmac_f32_e32 v31, v41, v20
	v_fma_f32 v17, v17, v20, -v21
	s_waitcnt vmcnt(0)
	v_mul_f32_e32 v20, v43, v23
	v_mul_f32_e32 v21, v32, v23
	v_fmac_f32_e32 v20, v32, v22
	v_fma_f32 v21, v43, v22, -v21
	v_sub_f32_e32 v22, v50, v47
	v_sub_f32_e32 v26, v46, v26
	;; [unrolled: 1-line block ×3, first 2 shown]
	v_fma_f32 v32, v50, 2.0, -v22
	v_sub_f32_e32 v16, v28, v16
	v_fma_f32 v40, v46, 2.0, -v26
	v_fma_f32 v24, v24, 2.0, -v23
	;; [unrolled: 1-line block ×3, first 2 shown]
	v_sub_f32_e32 v40, v32, v40
	v_add_f32_e32 v16, v22, v16
	v_sub_f32_e32 v28, v24, v28
	v_fma_f32 v32, v32, 2.0, -v40
	v_fma_f32 v22, v22, 2.0, -v16
	s_waitcnt lgkmcnt(0)
	v_sub_f32_e32 v18, v30, v18
	v_fma_f32 v41, v24, 2.0, -v28
	v_sub_f32_e32 v43, v23, v26
	v_sub_f32_e32 v24, v13, v39
	v_fma_f32 v26, v30, 2.0, -v18
	v_sub_f32_e32 v30, v19, v31
	s_barrier
	ds_write2_b32 v11, v32, v22 offset1:6
	ds_write2_b32 v11, v40, v16 offset0:12 offset1:18
	v_mul_lo_u16_e32 v16, 24, v53
	v_fma_f32 v13, v13, 2.0, -v24
	v_sub_f32_e32 v17, v25, v17
	v_fma_f32 v19, v19, 2.0, -v30
	v_or_b32_e32 v16, v16, v54
	v_fma_f32 v25, v25, 2.0, -v17
	v_sub_f32_e32 v19, v13, v19
	v_add_f32_e32 v17, v24, v17
	v_and_b32_e32 v16, 0xffff, v16
	v_fma_f32 v13, v13, 2.0, -v19
	v_fma_f32 v24, v24, 2.0, -v17
	v_lshl_add_u32 v16, v16, 2, 0
	v_sub_f32_e32 v39, v26, v25
	v_sub_f32_e32 v25, v15, v57
	;; [unrolled: 1-line block ×3, first 2 shown]
	ds_write2_b32 v16, v13, v24 offset1:6
	ds_write2_b32 v16, v19, v17 offset0:12 offset1:18
	v_mul_lo_u16_e32 v13, 24, v35
	v_fma_f32 v44, v26, 2.0, -v39
	v_sub_f32_e32 v45, v18, v30
	v_sub_f32_e32 v26, v42, v27
	v_fma_f32 v15, v15, 2.0, -v25
	v_sub_f32_e32 v21, v56, v21
	v_fma_f32 v30, v55, 2.0, -v20
	v_or_b32_e32 v13, v13, v38
	v_fma_f32 v27, v42, 2.0, -v26
	v_fma_f32 v31, v56, 2.0, -v21
	v_sub_f32_e32 v30, v15, v30
	v_add_f32_e32 v21, v25, v21
	v_and_b32_e32 v13, 0xffff, v13
	v_fma_f32 v23, v23, 2.0, -v43
	v_sub_f32_e32 v42, v27, v31
	v_fma_f32 v15, v15, 2.0, -v30
	v_sub_f32_e32 v20, v26, v20
	v_fma_f32 v25, v25, 2.0, -v21
	v_lshl_add_u32 v13, v13, 2, 0
	v_fma_f32 v18, v18, 2.0, -v45
	v_fma_f32 v46, v27, 2.0, -v42
	;; [unrolled: 1-line block ×3, first 2 shown]
	ds_write2_b32 v13, v15, v25 offset1:6
	ds_write2_b32 v13, v30, v21 offset0:12 offset1:18
	s_waitcnt lgkmcnt(0)
	s_barrier
	ds_read2st64_b32 v[24:25], v36 offset1:16
	ds_read2st64_b32 v[26:27], v36 offset0:20 offset1:24
	ds_read2st64_b32 v[30:31], v36 offset0:36 offset1:40
	;; [unrolled: 1-line block ×3, first 2 shown]
	ds_read_b32 v15, v1
	ds_read_b32 v32, v29
	ds_read_b32 v40, v7
	ds_read_b32 v48, v36 offset:11264
	s_waitcnt lgkmcnt(0)
	s_barrier
	ds_write2_b32 v11, v41, v23 offset1:6
	ds_write2_b32 v11, v28, v43 offset0:12 offset1:18
	ds_write2_b32 v16, v44, v18 offset1:6
	ds_write2_b32 v16, v39, v45 offset0:12 offset1:18
	;; [unrolled: 2-line block ×3, first 2 shown]
	v_lshrrev_b16_e32 v11, 12, v9
	v_mul_lo_u16_e32 v13, 24, v11
	v_sub_u16_e32 v13, v0, v13
	v_mul_u32_u24_sdwa v16, v13, v37 dst_sel:DWORD dst_unused:UNUSED_PAD src0_sel:BYTE_0 src1_sel:DWORD
	v_lshlrev_b32_e32 v28, 3, v16
	s_waitcnt lgkmcnt(0)
	s_barrier
	global_load_dwordx4 v[16:19], v28, s[8:9] offset:144
	v_lshrrev_b32_e32 v42, 20, v52
	v_mul_lo_u16_e32 v20, 24, v42
	v_sub_u16_e32 v43, v6, v20
	v_mul_lo_u16_e32 v20, 3, v43
	v_lshlrev_b32_e32 v44, 3, v20
	global_load_dwordx4 v[20:23], v44, s[8:9] offset:144
	ds_read_b32 v41, v7
	ds_read2st64_b32 v[38:39], v36 offset0:20 offset1:24
	ds_read_b32 v45, v29
	ds_read_b32 v46, v36 offset:11264
	v_lshrrev_b32_e32 v53, 20, v49
	v_mul_u32_u24_e32 v11, 0x60, v11
	v_or_b32_sdwa v11, v11, v13 dst_sel:DWORD dst_unused:UNUSED_PAD src0_sel:DWORD src1_sel:BYTE_0
	v_mul_lo_u16_e32 v13, 0x60, v53
	v_lshl_add_u32 v11, v11, 2, 0
	v_lshrrev_b16_e32 v9, 14, v9
	s_waitcnt vmcnt(1) lgkmcnt(3)
	v_mul_f32_e32 v47, v41, v17
	v_mul_f32_e32 v17, v40, v17
	v_fmac_f32_e32 v47, v40, v16
	v_fma_f32 v50, v41, v16, -v17
	v_mul_f32_e32 v16, v27, v19
	s_waitcnt lgkmcnt(2)
	v_mul_f32_e32 v51, v39, v19
	v_fma_f32 v39, v39, v18, -v16
	v_mul_lo_u16_e32 v16, 24, v53
	v_sub_u16_e32 v54, v14, v16
	v_mul_lo_u16_e32 v16, 3, v54
	v_lshlrev_b32_e32 v55, 3, v16
	v_fmac_f32_e32 v51, v27, v18
	global_load_dwordx4 v[16:19], v55, s[8:9] offset:144
	ds_read2st64_b32 v[40:41], v36 offset0:28 offset1:32
	s_waitcnt vmcnt(1)
	v_mul_f32_e32 v56, v38, v21
	v_fmac_f32_e32 v56, v26, v20
	v_mul_f32_e32 v21, v26, v21
	global_load_dwordx2 v[26:27], v28, s[8:9] offset:160
	v_fma_f32 v28, v38, v20, -v21
	s_waitcnt lgkmcnt(0)
	v_mul_f32_e32 v38, v41, v23
	v_mul_f32_e32 v20, v35, v23
	v_fmac_f32_e32 v38, v35, v22
	v_fma_f32 v41, v41, v22, -v20
	global_load_dwordx2 v[20:21], v55, s[8:9] offset:160
	global_load_dwordx2 v[22:23], v44, s[8:9] offset:160
	v_or_b32_e32 v13, v13, v54
	v_and_b32_e32 v13, 0xffff, v13
	v_lshl_add_u32 v13, v13, 2, 0
	s_waitcnt vmcnt(3)
	v_mul_f32_e32 v44, v40, v19
	v_fmac_f32_e32 v44, v34, v18
	v_mul_f32_e32 v19, v34, v19
	ds_read2st64_b32 v[34:35], v36 offset1:16
	v_fma_f32 v18, v40, v18, -v19
	s_waitcnt lgkmcnt(0)
	v_mul_f32_e32 v19, v35, v17
	v_mul_f32_e32 v17, v25, v17
	v_fmac_f32_e32 v19, v25, v16
	v_fma_f32 v25, v35, v16, -v17
	ds_read2st64_b32 v[16:17], v36 offset0:36 offset1:40
	s_waitcnt vmcnt(2) lgkmcnt(0)
	v_mul_f32_e32 v35, v16, v27
	v_mul_f32_e32 v27, v30, v27
	v_fmac_f32_e32 v35, v30, v26
	v_fma_f32 v16, v16, v26, -v27
	ds_read_b32 v26, v1
	s_waitcnt vmcnt(1)
	v_mul_f32_e32 v27, v17, v21
	v_mul_f32_e32 v21, v31, v21
	v_fmac_f32_e32 v27, v31, v20
	v_fma_f32 v17, v17, v20, -v21
	s_waitcnt vmcnt(0)
	v_mul_f32_e32 v20, v46, v23
	v_mul_f32_e32 v21, v48, v23
	v_sub_f32_e32 v23, v34, v39
	v_sub_f32_e32 v16, v50, v16
	v_fma_f32 v30, v34, 2.0, -v23
	v_sub_f32_e32 v31, v47, v35
	v_fma_f32 v35, v50, 2.0, -v16
	v_sub_f32_e32 v39, v30, v35
	v_fmac_f32_e32 v20, v48, v22
	v_fma_f32 v21, v46, v22, -v21
	v_sub_f32_e32 v22, v24, v51
	v_fma_f32 v40, v30, 2.0, -v39
	v_sub_f32_e32 v30, v15, v44
	v_sub_f32_e32 v27, v19, v27
	v_fma_f32 v24, v24, 2.0, -v22
	v_fma_f32 v34, v47, 2.0, -v31
	s_waitcnt lgkmcnt(0)
	v_sub_f32_e32 v18, v26, v18
	v_fma_f32 v15, v15, 2.0, -v30
	v_sub_f32_e32 v17, v25, v17
	v_fma_f32 v19, v19, 2.0, -v27
	v_sub_f32_e32 v34, v24, v34
	v_add_f32_e32 v16, v22, v16
	v_fma_f32 v26, v26, 2.0, -v18
	v_fma_f32 v25, v25, 2.0, -v17
	v_sub_f32_e32 v19, v15, v19
	v_add_f32_e32 v17, v30, v17
	v_fma_f32 v24, v24, 2.0, -v34
	v_fma_f32 v22, v22, 2.0, -v16
	v_sub_f32_e32 v44, v26, v25
	v_fma_f32 v15, v15, 2.0, -v19
	v_fma_f32 v25, v30, 2.0, -v17
	;; [unrolled: 1-line block ×3, first 2 shown]
	v_sub_f32_e32 v26, v32, v38
	v_sub_f32_e32 v20, v56, v20
	s_barrier
	ds_write2_b32 v11, v24, v22 offset1:24
	ds_write2_b32 v11, v34, v16 offset0:48 offset1:72
	ds_write2_b32 v13, v15, v25 offset1:24
	ds_write2_b32 v13, v19, v17 offset0:48 offset1:72
	v_mul_lo_u16_e32 v15, 0x60, v42
	v_sub_f32_e32 v48, v18, v27
	v_sub_f32_e32 v27, v45, v41
	v_fma_f32 v30, v32, 2.0, -v26
	v_sub_f32_e32 v21, v28, v21
	v_fma_f32 v32, v56, 2.0, -v20
	v_or_b32_e32 v15, v15, v43
	v_sub_f32_e32 v46, v23, v31
	v_fma_f32 v31, v45, 2.0, -v27
	v_fma_f32 v28, v28, 2.0, -v21
	v_sub_f32_e32 v32, v30, v32
	v_add_f32_e32 v21, v26, v21
	v_and_b32_e32 v15, 0xffff, v15
	v_fma_f32 v23, v23, 2.0, -v46
	v_sub_f32_e32 v28, v31, v28
	v_fma_f32 v30, v30, 2.0, -v32
	v_sub_f32_e32 v20, v27, v20
	v_fma_f32 v26, v26, 2.0, -v21
	v_lshl_add_u32 v15, v15, 2, 0
	v_fma_f32 v18, v18, 2.0, -v48
	v_fma_f32 v38, v31, 2.0, -v28
	;; [unrolled: 1-line block ×3, first 2 shown]
	ds_write2_b32 v15, v30, v26 offset1:24
	ds_write2_b32 v15, v32, v21 offset0:48 offset1:72
	s_waitcnt lgkmcnt(0)
	s_barrier
	ds_read2st64_b32 v[24:25], v36 offset1:16
	ds_read2st64_b32 v[26:27], v36 offset0:20 offset1:24
	ds_read2st64_b32 v[30:31], v36 offset0:36 offset1:40
	;; [unrolled: 1-line block ×3, first 2 shown]
	ds_read_b32 v32, v1
	ds_read_b32 v50, v29
	;; [unrolled: 1-line block ×3, first 2 shown]
	ds_read_b32 v53, v36 offset:11264
	s_waitcnt lgkmcnt(0)
	s_barrier
	ds_write2_b32 v11, v40, v23 offset1:24
	ds_write2_b32 v11, v39, v46 offset0:48 offset1:72
	ds_write2_b32 v13, v47, v18 offset1:24
	ds_write2_b32 v13, v44, v48 offset0:48 offset1:72
	;; [unrolled: 2-line block ×3, first 2 shown]
	v_mul_lo_u16_e32 v11, 0x60, v9
	v_sub_u16_e32 v11, v0, v11
	v_mul_u32_u24_sdwa v13, v11, v37 dst_sel:DWORD dst_unused:UNUSED_PAD src0_sel:BYTE_0 src1_sel:DWORD
	v_lshlrev_b32_e32 v13, 3, v13
	s_waitcnt lgkmcnt(0)
	s_barrier
	global_load_dwordx4 v[16:19], v13, s[8:9] offset:720
	global_load_dwordx2 v[38:39], v13, s[8:9] offset:736
	v_lshrrev_b32_e32 v13, 22, v49
	v_mul_lo_u16_e32 v15, 0x60, v13
	v_sub_u16_e32 v15, v14, v15
	v_mul_lo_u16_e32 v20, 3, v15
	v_lshlrev_b32_e32 v28, 3, v20
	global_load_dwordx4 v[20:23], v28, s[8:9] offset:720
	global_load_dwordx2 v[40:41], v28, s[8:9] offset:736
	ds_read2st64_b32 v[42:43], v36 offset1:16
	ds_read_b32 v28, v7
	ds_read2st64_b32 v[44:45], v36 offset0:20 offset1:24
	ds_read2st64_b32 v[46:47], v36 offset0:36 offset1:40
	;; [unrolled: 1-line block ×3, first 2 shown]
	ds_read_b32 v37, v29
	ds_read_b32 v54, v36 offset:11264
	v_mul_u32_u24_e32 v9, 0x180, v9
	v_or_b32_sdwa v9, v9, v11 dst_sel:DWORD dst_unused:UNUSED_PAD src0_sel:DWORD src1_sel:BYTE_0
	v_lshl_add_u32 v9, v9, 2, 0
	v_mul_lo_u16_e32 v13, 0x180, v13
	v_or_b32_e32 v13, v13, v15
	v_and_b32_e32 v13, 0xffff, v13
	v_lshl_add_u32 v13, v13, 2, 0
	v_add_u32_e32 v11, 0x200, v9
	v_add_u32_e32 v15, 0x200, v13
	s_waitcnt vmcnt(3) lgkmcnt(5)
	v_mul_f32_e32 v55, v28, v17
	v_mul_f32_e32 v17, v51, v17
	v_fmac_f32_e32 v55, v51, v16
	v_fma_f32 v28, v28, v16, -v17
	s_waitcnt lgkmcnt(4)
	v_mul_f32_e32 v51, v45, v19
	v_mul_f32_e32 v16, v27, v19
	v_fmac_f32_e32 v51, v27, v18
	v_fma_f32 v27, v45, v18, -v16
	s_waitcnt vmcnt(2) lgkmcnt(3)
	v_mul_f32_e32 v45, v46, v39
	v_mul_f32_e32 v16, v30, v39
	v_fmac_f32_e32 v45, v30, v38
	v_fma_f32 v30, v46, v38, -v16
	s_waitcnt vmcnt(1)
	v_mul_f32_e32 v38, v43, v21
	v_mul_f32_e32 v16, v25, v21
	v_fmac_f32_e32 v38, v25, v20
	v_fma_f32 v25, v43, v20, -v16
	s_waitcnt lgkmcnt(2)
	v_mul_f32_e32 v39, v48, v23
	v_mul_f32_e32 v16, v34, v23
	v_fmac_f32_e32 v39, v34, v22
	v_fma_f32 v22, v48, v22, -v16
	s_waitcnt vmcnt(0)
	v_mul_f32_e32 v23, v47, v41
	v_mul_f32_e32 v16, v31, v41
	v_lshrrev_b32_e32 v34, 22, v52
	v_fmac_f32_e32 v23, v31, v40
	v_fma_f32 v31, v47, v40, -v16
	v_mul_lo_u16_e32 v16, 0x60, v34
	v_sub_u16_e32 v40, v6, v16
	v_mul_lo_u16_e32 v16, 3, v40
	v_lshlrev_b32_e32 v41, 3, v16
	global_load_dwordx4 v[16:19], v41, s[8:9] offset:720
	global_load_dwordx2 v[20:21], v41, s[8:9] offset:736
	v_sub_f32_e32 v30, v28, v30
	v_fma_f32 v28, v28, 2.0, -v30
	ds_read_b32 v41, v1
	v_sub_f32_e32 v23, v38, v23
	s_waitcnt lgkmcnt(0)
	s_barrier
	v_sub_f32_e32 v31, v25, v31
	v_sub_f32_e32 v22, v41, v22
	v_fma_f32 v25, v25, 2.0, -v31
	s_waitcnt vmcnt(1)
	v_mul_f32_e32 v43, v44, v17
	v_mul_f32_e32 v17, v26, v17
	v_fmac_f32_e32 v43, v26, v16
	v_fma_f32 v16, v44, v16, -v17
	v_mul_f32_e32 v17, v49, v19
	v_mul_f32_e32 v19, v35, v19
	v_fmac_f32_e32 v17, v35, v18
	v_fma_f32 v18, v49, v18, -v19
	s_waitcnt vmcnt(0)
	v_mul_f32_e32 v19, v54, v21
	v_mul_f32_e32 v21, v53, v21
	v_sub_f32_e32 v26, v42, v27
	v_fmac_f32_e32 v19, v53, v20
	v_fma_f32 v20, v54, v20, -v21
	v_sub_f32_e32 v21, v24, v51
	v_fma_f32 v27, v42, 2.0, -v26
	v_sub_f32_e32 v35, v55, v45
	v_fma_f32 v24, v24, 2.0, -v21
	v_fma_f32 v42, v55, 2.0, -v35
	v_sub_f32_e32 v28, v27, v28
	v_sub_f32_e32 v42, v24, v42
	v_fma_f32 v44, v27, 2.0, -v28
	v_add_f32_e32 v27, v21, v30
	v_fma_f32 v24, v24, 2.0, -v42
	v_sub_f32_e32 v45, v26, v35
	v_fma_f32 v21, v21, 2.0, -v27
	v_fma_f32 v46, v26, 2.0, -v45
	v_sub_f32_e32 v26, v32, v39
	v_sub_f32_e32 v17, v50, v17
	;; [unrolled: 1-line block ×3, first 2 shown]
	ds_write2_b32 v9, v24, v21 offset1:96
	v_mul_lo_u16_e32 v21, 0x180, v34
	v_fma_f32 v30, v32, 2.0, -v26
	v_fma_f32 v35, v38, 2.0, -v23
	;; [unrolled: 1-line block ×3, first 2 shown]
	v_sub_f32_e32 v20, v16, v20
	v_fma_f32 v39, v43, 2.0, -v19
	v_or_b32_e32 v21, v21, v40
	v_sub_f32_e32 v35, v30, v35
	v_add_f32_e32 v31, v26, v31
	v_sub_f32_e32 v18, v37, v18
	v_fma_f32 v16, v16, 2.0, -v20
	v_sub_f32_e32 v39, v38, v39
	v_add_f32_e32 v20, v17, v20
	v_and_b32_e32 v21, 0xffff, v21
	v_fma_f32 v32, v41, 2.0, -v22
	v_fma_f32 v30, v30, 2.0, -v35
	;; [unrolled: 1-line block ×6, first 2 shown]
	v_lshl_add_u32 v21, v21, 2, 0
	v_sub_f32_e32 v25, v32, v25
	v_sub_f32_e32 v23, v22, v23
	;; [unrolled: 1-line block ×4, first 2 shown]
	ds_write2_b32 v11, v42, v27 offset0:64 offset1:160
	ds_write2_b32 v13, v30, v26 offset1:96
	ds_write2_b32 v15, v35, v31 offset0:64 offset1:160
	ds_write2_b32 v21, v38, v17 offset1:96
	v_add_u32_e32 v17, 0x200, v21
	v_fma_f32 v32, v32, 2.0, -v25
	v_fma_f32 v22, v22, 2.0, -v23
	;; [unrolled: 1-line block ×4, first 2 shown]
	ds_write2_b32 v17, v39, v20 offset0:64 offset1:160
	s_waitcnt lgkmcnt(0)
	s_barrier
	ds_read2st64_b32 v[26:27], v36 offset1:16
	ds_read2st64_b32 v[30:31], v36 offset0:20 offset1:24
	ds_read2st64_b32 v[34:35], v36 offset0:36 offset1:40
	;; [unrolled: 1-line block ×3, first 2 shown]
	ds_read_b32 v54, v1
	ds_read_b32 v55, v29
	;; [unrolled: 1-line block ×3, first 2 shown]
	ds_read_b32 v57, v36 offset:11264
	s_waitcnt lgkmcnt(0)
	s_barrier
	ds_write2_b32 v9, v44, v46 offset1:96
	ds_write2_b32 v11, v28, v45 offset0:64 offset1:160
	ds_write2_b32 v13, v32, v22 offset1:96
	ds_write2_b32 v15, v25, v23 offset0:64 offset1:160
	;; [unrolled: 2-line block ×3, first 2 shown]
	v_mul_u32_u24_e32 v9, 3, v0
	v_lshlrev_b32_e32 v16, 3, v9
	v_add_u32_e32 v9, 0xffffff80, v0
	s_waitcnt lgkmcnt(0)
	s_barrier
	global_load_dwordx4 v[18:21], v16, s[8:9] offset:3024
	global_load_dwordx2 v[40:41], v16, s[8:9] offset:3040
	v_mov_b32_e32 v17, 0
	v_cndmask_b32_e64 v9, v9, v14, s[0:1]
	v_lshl_add_u64 v[42:43], s[8:9], 0, v[16:17]
	v_mul_i32_i24_e32 v16, 3, v9
	v_lshl_add_u64 v[44:45], v[16:17], 3, s[8:9]
	global_load_dwordx4 v[22:25], v[44:45], off offset:3024
	global_load_dwordx2 v[46:47], v[44:45], off offset:3040
	ds_read2st64_b32 v[44:45], v36 offset1:16
	ds_read_b32 v11, v7
	ds_read2st64_b32 v[48:49], v36 offset0:20 offset1:24
	ds_read2st64_b32 v[50:51], v36 offset0:36 offset1:40
	;; [unrolled: 1-line block ×3, first 2 shown]
	ds_read_b32 v13, v29
	ds_read_b32 v15, v36 offset:11264
	s_movk_i32 s0, 0x1000
	s_waitcnt vmcnt(3) lgkmcnt(5)
	v_mul_f32_e32 v16, v11, v19
	v_mul_f32_e32 v19, v56, v19
	v_fmac_f32_e32 v16, v56, v18
	v_fma_f32 v11, v11, v18, -v19
	s_waitcnt lgkmcnt(4)
	v_mul_f32_e32 v28, v49, v21
	v_mul_f32_e32 v18, v31, v21
	v_fmac_f32_e32 v28, v31, v20
	v_fma_f32 v31, v49, v20, -v18
	s_waitcnt vmcnt(2) lgkmcnt(3)
	v_mul_f32_e32 v32, v50, v41
	v_mul_f32_e32 v18, v34, v41
	v_fmac_f32_e32 v32, v34, v40
	v_fma_f32 v34, v50, v40, -v18
	s_waitcnt vmcnt(1)
	v_mul_f32_e32 v37, v45, v23
	v_mul_f32_e32 v18, v27, v23
	v_fmac_f32_e32 v37, v27, v22
	v_fma_f32 v27, v45, v22, -v18
	s_waitcnt lgkmcnt(2)
	v_mul_f32_e32 v40, v52, v25
	v_mul_f32_e32 v18, v38, v25
	v_fmac_f32_e32 v40, v38, v24
	v_fma_f32 v24, v52, v24, -v18
	v_add_co_u32_e64 v18, s[0:1], s0, v42
	ds_read_b32 v38, v1
	s_nop 0
	v_addc_co_u32_e64 v19, s[0:1], 0, v43, s[0:1]
	global_load_dwordx4 v[18:21], v[18:19], off offset:2000
	s_mov_b64 s[0:1], 0x17d0
	v_lshl_add_u64 v[22:23], v[42:43], 0, s[0:1]
	global_load_dwordx2 v[22:23], v[22:23], off offset:16
	s_waitcnt vmcnt(2)
	v_mul_f32_e32 v25, v51, v47
	v_fmac_f32_e32 v25, v35, v46
	v_mul_f32_e32 v35, v35, v47
	v_fma_f32 v35, v51, v46, -v35
	s_waitcnt lgkmcnt(0)
	v_sub_f32_e32 v24, v38, v24
	v_sub_f32_e32 v25, v37, v25
	;; [unrolled: 1-line block ×3, first 2 shown]
	s_movk_i32 s0, 0x17f
	v_fma_f32 v37, v37, 2.0, -v25
	v_fma_f32 v27, v27, 2.0, -v35
	s_barrier
	v_cmp_lt_u32_e64 s[0:1], s0, v14
	v_sub_f32_e32 v25, v24, v25
	v_fma_f32 v42, v24, 2.0, -v25
	s_waitcnt vmcnt(1)
	v_mul_f32_e32 v41, v48, v19
	v_mul_f32_e32 v19, v30, v19
	v_fmac_f32_e32 v41, v30, v18
	v_fma_f32 v18, v48, v18, -v19
	v_mul_f32_e32 v19, v53, v21
	v_mul_f32_e32 v21, v39, v21
	v_fmac_f32_e32 v19, v39, v20
	v_fma_f32 v20, v53, v20, -v21
	s_waitcnt vmcnt(0)
	v_mul_f32_e32 v21, v15, v23
	v_mul_f32_e32 v23, v57, v23
	v_fma_f32 v15, v15, v22, -v23
	v_sub_f32_e32 v23, v44, v31
	v_sub_f32_e32 v31, v11, v34
	v_fmac_f32_e32 v21, v57, v22
	v_sub_f32_e32 v22, v26, v28
	v_fma_f32 v28, v44, 2.0, -v23
	v_sub_f32_e32 v30, v16, v32
	v_fma_f32 v11, v11, 2.0, -v31
	v_fma_f32 v26, v26, 2.0, -v22
	;; [unrolled: 1-line block ×3, first 2 shown]
	v_sub_f32_e32 v11, v28, v11
	v_sub_f32_e32 v16, v26, v16
	v_fma_f32 v39, v28, 2.0, -v11
	v_add_f32_e32 v28, v22, v31
	v_sub_f32_e32 v30, v23, v30
	v_fma_f32 v26, v26, 2.0, -v16
	v_fma_f32 v22, v22, 2.0, -v28
	;; [unrolled: 1-line block ×3, first 2 shown]
	v_sub_f32_e32 v23, v54, v40
	v_fma_f32 v32, v54, 2.0, -v23
	v_fma_f32 v34, v38, 2.0, -v24
	ds_write2st64_b32 v36, v26, v22 offset1:6
	ds_write2st64_b32 v36, v16, v28 offset0:12 offset1:18
	v_mov_b32_e32 v16, 0x600
	v_sub_f32_e32 v37, v32, v37
	v_sub_f32_e32 v38, v34, v27
	;; [unrolled: 1-line block ×4, first 2 shown]
	v_cndmask_b32_e64 v16, 0, v16, s[0:1]
	v_fma_f32 v27, v32, 2.0, -v37
	v_fma_f32 v40, v34, 2.0, -v38
	v_add_f32_e32 v32, v23, v35
	v_sub_f32_e32 v20, v13, v20
	v_fma_f32 v24, v55, 2.0, -v19
	v_sub_f32_e32 v15, v18, v15
	v_fma_f32 v34, v41, 2.0, -v21
	v_or_b32_e32 v9, v16, v9
	v_fma_f32 v23, v23, 2.0, -v32
	v_fma_f32 v13, v13, 2.0, -v20
	;; [unrolled: 1-line block ×3, first 2 shown]
	v_sub_f32_e32 v34, v24, v34
	v_add_f32_e32 v15, v19, v15
	v_lshl_add_u32 v9, v9, 2, 0
	v_sub_f32_e32 v41, v13, v18
	v_fma_f32 v18, v24, 2.0, -v34
	v_fma_f32 v19, v19, 2.0, -v15
	ds_write2st64_b32 v9, v27, v23 offset1:6
	ds_write2st64_b32 v9, v37, v32 offset0:12 offset1:18
	ds_write_b32 v36, v18 offset:6656
	v_lshl_add_u32 v37, v0, 2, 0
	v_sub_f32_e32 v43, v20, v21
	ds_write2st64_b32 v37, v19, v34 offset0:32 offset1:38
	ds_write_b32 v37, v15 offset:11264
	v_lshl_add_u32 v19, v8, 2, 0
	v_fma_f32 v44, v20, 2.0, -v43
	s_waitcnt lgkmcnt(0)
	s_barrier
	ds_read2st64_b32 v[34:35], v36 offset1:24
	ds_read2st64_b32 v[26:27], v36 offset0:28 offset1:32
	ds_read2st64_b32 v[20:21], v36 offset0:36 offset1:40
	ds_read_b32 v22, v19
	v_lshl_add_u32 v23, v12, 2, 0
	ds_read_b32 v32, v1
	ds_read_b32 v16, v23
	;; [unrolled: 1-line block ×4, first 2 shown]
	ds_read_b32 v18, v36 offset:11264
	v_fma_f32 v13, v13, 2.0, -v41
	s_waitcnt lgkmcnt(0)
	s_barrier
	ds_write2st64_b32 v36, v39, v31 offset1:6
	ds_write2st64_b32 v36, v11, v30 offset0:12 offset1:18
	ds_write2st64_b32 v9, v40, v42 offset1:6
	ds_write2st64_b32 v9, v38, v25 offset0:12 offset1:18
	ds_write_b32 v36, v13 offset:6656
	ds_write2st64_b32 v37, v44, v41 offset0:32 offset1:38
	ds_write_b32 v37, v43 offset:11264
	s_waitcnt lgkmcnt(0)
	s_barrier
	s_and_saveexec_b64 s[0:1], vcc
	s_cbranch_execz .LBB0_15
; %bb.14:
	v_mov_b32_e32 v1, v17
	v_lshl_add_u64 v[30:31], v[0:1], 3, s[8:9]
	s_movk_i32 s0, 0x2000
	v_add_co_u32_e32 v30, vcc, s0, v30
	v_mov_b32_e32 v15, v17
	s_nop 0
	v_addc_co_u32_e32 v31, vcc, 0, v31, vcc
	global_load_dwordx2 v[38:39], v[30:31], off offset:4048
	v_mul_i32_i24_e32 v1, 0xffffffec, v14
	v_lshl_add_u64 v[14:15], v[14:15], 3, s[8:9]
	v_add_co_u32_e32 v14, vcc, s0, v14
	v_mul_lo_u32 v45, s3, v4
	s_nop 0
	v_addc_co_u32_e32 v15, vcc, 0, v15, vcc
	v_mul_lo_u32 v5, s2, v5
	v_mad_u64_u32 v[40:41], s[2:3], s2, v4, 0
	ds_read2st64_b32 v[30:31], v36 offset0:36 offset1:40
	ds_read_b32 v4, v36 offset:11264
	ds_read_b32 v25, v7
	global_load_dwordx2 v[14:15], v[14:15], off offset:4048
	v_mov_b32_e32 v7, v17
	v_lshl_add_u64 v[6:7], v[6:7], 3, s[8:9]
	v_mov_b32_e32 v11, v17
	v_add_co_u32_e32 v6, vcc, s0, v6
	v_add3_u32 v41, v41, v5, v45
	v_lshl_add_u64 v[10:11], v[10:11], 3, s[8:9]
	v_addc_co_u32_e32 v7, vcc, 0, v7, vcc
	v_add_u32_e32 v1, v33, v1
	v_lshl_add_u64 v[40:41], v[40:41], 3, s[6:7]
	v_add_co_u32_e32 v10, vcc, s0, v10
	v_mov_b32_e32 v13, v17
	v_mov_b32_e32 v9, v17
	ds_read2st64_b32 v[42:43], v36 offset0:28 offset1:32
	ds_read2st64_b32 v[36:37], v36 offset1:24
	ds_read_b32 v33, v1
	ds_read_b32 v17, v23
	;; [unrolled: 1-line block ×4, first 2 shown]
	v_addc_co_u32_e32 v11, vcc, 0, v11, vcc
	v_lshl_add_u64 v[2:3], v[2:3], 3, v[40:41]
	global_load_dwordx2 v[40:41], v[6:7], off offset:4048
	global_load_dwordx2 v[48:49], v[10:11], off offset:4048
	s_mov_b32 s1, 0xaaaaaaab
	v_mul_hi_u32 v5, v0, s1
	v_mov_b32_e32 v44, v35
	v_mov_b32_e32 v46, v35
	v_add_u32_e32 v35, 0x100, v0
	v_lshrrev_b32_e32 v1, 10, v5
	v_mul_hi_u32 v45, v35, s1
	v_mul_u32_u24_e32 v1, 0x600, v1
	v_lshrrev_b32_e32 v5, 10, v45
	v_sub_u32_e32 v1, v0, v1
	v_mul_u32_u24_e32 v19, 0x600, v5
	v_mad_u64_u32 v[6:7], s[4:5], s16, v1, 0
	v_add_u32_e32 v11, 0x600, v1
	v_sub_u32_e32 v19, v35, v19
	s_waitcnt lgkmcnt(4)
	v_mov_b32_e32 v35, v36
	v_mov_b32_e32 v36, v7
	v_mad_u64_u32 v[50:51], s[4:5], s16, v11, 0
	v_mov_b32_e32 v10, v37
	v_mad_u64_u32 v[36:37], s[4:5], s17, v1, v[36:37]
	v_mov_b32_e32 v52, v51
	v_mov_b32_e32 v7, v36
	v_mad_u64_u32 v[36:37], s[4:5], s17, v11, v[52:53]
	s_movk_i32 s2, 0xc00
	v_lshl_add_u64 v[6:7], v[6:7], 3, v[2:3]
	v_mov_b32_e32 v51, v36
	v_mad_u32_u24 v1, v5, s2, v19
	v_lshl_add_u64 v[36:37], v[50:51], 3, v[2:3]
	v_lshl_add_u64 v[8:9], v[8:9], 3, s[8:9]
	v_add_co_u32_e32 v8, vcc, s0, v8
	v_lshl_add_u64 v[12:13], v[12:13], 3, s[8:9]
	s_nop 0
	v_addc_co_u32_e32 v9, vcc, 0, v9, vcc
	s_waitcnt vmcnt(3)
	v_pk_mul_f32 v[10:11], v[38:39], v[10:11] op_sel_hi:[1,0]
	s_nop 0
	v_pk_fma_f32 v[44:45], v[44:45], v[38:39], v[10:11] op_sel:[0,0,1] op_sel_hi:[1,1,0]
	v_pk_fma_f32 v[10:11], v[46:47], v[38:39], v[10:11] op_sel:[0,0,1] op_sel_hi:[0,1,0] neg_lo:[1,0,0] neg_hi:[1,0,0]
	v_mov_b32_e32 v45, v11
	v_pk_add_f32 v[10:11], v[34:35], v[44:45] neg_lo:[0,1] neg_hi:[0,1]
	s_nop 0
	v_pk_fma_f32 v[34:35], v[34:35], 2.0, v[10:11] op_sel_hi:[1,0,1] neg_lo:[0,0,1] neg_hi:[0,0,1]
	global_store_dwordx2 v[6:7], v[34:35], off
	global_store_dwordx2 v[36:37], v[10:11], off
	v_mad_u64_u32 v[6:7], s[4:5], s16, v1, 0
	v_mov_b32_e32 v10, v7
	v_mad_u64_u32 v[10:11], s[4:5], s17, v1, v[10:11]
	v_add_u32_e32 v1, 0x600, v1
	v_mov_b32_e32 v7, v10
	v_mad_u64_u32 v[10:11], s[4:5], s16, v1, 0
	v_mov_b32_e32 v34, v11
	v_mad_u64_u32 v[34:35], s[4:5], s17, v1, v[34:35]
	v_mov_b32_e32 v11, v34
	s_waitcnt vmcnt(4)
	v_pk_mul_f32 v[34:35], v[14:15], v[42:43] op_sel_hi:[1,0]
	v_add_u32_e32 v1, 0x200, v0
	v_pk_fma_f32 v[36:37], v[26:27], v[14:15], v[34:35] op_sel:[0,0,1] op_sel_hi:[1,1,0]
	v_pk_fma_f32 v[14:15], v[26:27], v[14:15], v[34:35] op_sel:[0,0,1] op_sel_hi:[0,1,0] neg_lo:[1,0,0] neg_hi:[1,0,0]
	v_mov_b32_e32 v37, v15
	s_waitcnt lgkmcnt(3)
	v_pk_add_f32 v[14:15], v[32:33], v[36:37] neg_lo:[0,1] neg_hi:[0,1]
	v_mul_hi_u32 v5, v1, s1
	v_lshl_add_u64 v[6:7], v[6:7], 3, v[2:3]
	v_pk_fma_f32 v[32:33], v[32:33], 2.0, v[14:15] op_sel_hi:[1,0,1] neg_lo:[0,0,1] neg_hi:[0,0,1]
	v_lshrrev_b32_e32 v5, 10, v5
	v_lshl_add_u64 v[10:11], v[10:11], 3, v[2:3]
	global_store_dwordx2 v[6:7], v[32:33], off
	global_store_dwordx2 v[10:11], v[14:15], off
	v_mul_u32_u24_e32 v6, 0x600, v5
	v_sub_u32_e32 v1, v1, v6
	v_mad_u32_u24 v1, v5, s2, v1
	v_mad_u64_u32 v[6:7], s[4:5], s16, v1, 0
	v_mov_b32_e32 v10, v7
	v_mad_u64_u32 v[10:11], s[4:5], s17, v1, v[10:11]
	v_add_u32_e32 v1, 0x600, v1
	global_load_dwordx2 v[8:9], v[8:9], off offset:4048
	v_mov_b32_e32 v7, v10
	v_mad_u64_u32 v[10:11], s[4:5], s16, v1, 0
	v_mov_b32_e32 v14, v11
	v_mad_u64_u32 v[14:15], s[4:5], s17, v1, v[14:15]
	v_mov_b32_e32 v26, v43
	v_mov_b32_e32 v11, v14
	;; [unrolled: 1-line block ×3, first 2 shown]
	s_waitcnt vmcnt(6)
	v_pk_mul_f32 v[32:33], v[40:41], v[26:27] op_sel_hi:[1,0]
	v_mov_b32_e32 v26, v27
	v_pk_fma_f32 v[14:15], v[14:15], v[40:41], v[32:33] op_sel:[0,0,1] op_sel_hi:[1,1,0]
	v_pk_fma_f32 v[26:27], v[26:27], v[40:41], v[32:33] op_sel:[0,0,1] op_sel_hi:[0,1,0] neg_lo:[1,0,0] neg_hi:[1,0,0]
	v_mov_b32_e32 v15, v27
	s_waitcnt lgkmcnt(0)
	v_pk_add_f32 v[14:15], v[28:29], v[14:15] neg_lo:[0,1] neg_hi:[0,1]
	v_lshl_add_u64 v[6:7], v[6:7], 3, v[2:3]
	v_pk_fma_f32 v[26:27], v[28:29], 2.0, v[14:15] op_sel_hi:[1,0,1] neg_lo:[0,0,1] neg_hi:[0,0,1]
	v_lshl_add_u64 v[10:11], v[10:11], 3, v[2:3]
	global_store_dwordx2 v[6:7], v[26:27], off
	global_store_dwordx2 v[10:11], v[14:15], off
	v_add_co_u32_e32 v6, vcc, s0, v12
	v_add_u32_e32 v1, 0x300, v0
	s_nop 0
	v_addc_co_u32_e32 v7, vcc, 0, v13, vcc
	global_load_dwordx2 v[6:7], v[6:7], off offset:4048
	v_mul_hi_u32 v5, v1, s1
	v_lshrrev_b32_e32 v5, 10, v5
	v_mul_u32_u24_e32 v10, 0x600, v5
	v_sub_u32_e32 v1, v1, v10
	v_mad_u32_u24 v1, v5, s2, v1
	v_mad_u64_u32 v[10:11], s[4:5], s16, v1, 0
	v_mov_b32_e32 v12, v11
	v_mad_u64_u32 v[12:13], s[4:5], s17, v1, v[12:13]
	v_add_u32_e32 v1, 0x600, v1
	v_mov_b32_e32 v11, v12
	v_mad_u64_u32 v[12:13], s[4:5], s16, v1, 0
	v_mov_b32_e32 v14, v13
	v_mad_u64_u32 v[14:15], s[4:5], s17, v1, v[14:15]
	v_mov_b32_e32 v13, v14
	s_waitcnt vmcnt(8)
	v_pk_mul_f32 v[14:15], v[48:49], v[30:31] op_sel_hi:[1,0]
	v_add_u32_e32 v1, 0x400, v0
	v_pk_fma_f32 v[26:27], v[20:21], v[48:49], v[14:15] op_sel:[0,0,1] op_sel_hi:[1,1,0]
	v_pk_fma_f32 v[14:15], v[20:21], v[48:49], v[14:15] op_sel:[0,0,1] op_sel_hi:[0,1,0] neg_lo:[1,0,0] neg_hi:[1,0,0]
	v_mov_b32_e32 v27, v15
	v_pk_add_f32 v[14:15], v[24:25], v[26:27] neg_lo:[0,1] neg_hi:[0,1]
	v_mul_hi_u32 v5, v1, s1
	v_lshl_add_u64 v[10:11], v[10:11], 3, v[2:3]
	v_pk_fma_f32 v[24:25], v[24:25], 2.0, v[14:15] op_sel_hi:[1,0,1] neg_lo:[0,0,1] neg_hi:[0,0,1]
	v_lshrrev_b32_e32 v5, 10, v5
	v_lshl_add_u64 v[12:13], v[12:13], 3, v[2:3]
	global_store_dwordx2 v[10:11], v[24:25], off
	global_store_dwordx2 v[12:13], v[14:15], off
	v_mul_u32_u24_e32 v10, 0x600, v5
	v_sub_u32_e32 v1, v1, v10
	v_mad_u32_u24 v1, v5, s2, v1
	v_mad_u64_u32 v[10:11], s[4:5], s16, v1, 0
	v_mov_b32_e32 v12, v11
	v_mad_u64_u32 v[12:13], s[4:5], s17, v1, v[12:13]
	v_add_u32_e32 v1, 0x600, v1
	v_mov_b32_e32 v11, v12
	v_mad_u64_u32 v[12:13], s[4:5], s16, v1, 0
	v_mov_b32_e32 v14, v13
	v_add_u32_e32 v0, 0x500, v0
	v_mad_u64_u32 v[14:15], s[4:5], s17, v1, v[14:15]
	v_mov_b32_e32 v20, v31
	v_mul_hi_u32 v1, v0, s1
	v_mov_b32_e32 v13, v14
	v_mov_b32_e32 v14, v21
	v_lshrrev_b32_e32 v1, 10, v1
	v_mul_u32_u24_e32 v5, 0x600, v1
	v_sub_u32_e32 v0, v0, v5
	v_mad_u32_u24 v5, v1, s2, v0
	s_waitcnt vmcnt(5)
	v_pk_mul_f32 v[24:25], v[8:9], v[20:21] op_sel_hi:[1,0]
	v_mov_b32_e32 v20, v21
	v_pk_fma_f32 v[14:15], v[14:15], v[8:9], v[24:25] op_sel:[0,0,1] op_sel_hi:[1,1,0]
	v_pk_fma_f32 v[8:9], v[20:21], v[8:9], v[24:25] op_sel:[0,0,1] op_sel_hi:[0,1,0] neg_lo:[1,0,0] neg_hi:[1,0,0]
	v_mov_b32_e32 v15, v9
	v_pk_add_f32 v[8:9], v[22:23], v[14:15] neg_lo:[0,1] neg_hi:[0,1]
	v_lshl_add_u64 v[10:11], v[10:11], 3, v[2:3]
	v_pk_fma_f32 v[14:15], v[22:23], 2.0, v[8:9] op_sel_hi:[1,0,1] neg_lo:[0,0,1] neg_hi:[0,0,1]
	v_mad_u64_u32 v[0:1], s[0:1], s16, v5, 0
	v_lshl_add_u64 v[12:13], v[12:13], 3, v[2:3]
	global_store_dwordx2 v[10:11], v[14:15], off
	global_store_dwordx2 v[12:13], v[8:9], off
	v_mov_b32_e32 v8, v1
	v_mad_u64_u32 v[8:9], s[0:1], s17, v5, v[8:9]
	v_add_u32_e32 v5, 0x600, v5
	v_mov_b32_e32 v1, v8
	v_mad_u64_u32 v[8:9], s[0:1], s16, v5, 0
	v_mov_b32_e32 v10, v9
	v_mad_u64_u32 v[10:11], s[0:1], s17, v5, v[10:11]
	v_mov_b32_e32 v9, v10
	v_lshl_add_u64 v[0:1], v[0:1], 3, v[2:3]
	v_lshl_add_u64 v[2:3], v[8:9], 3, v[2:3]
	s_waitcnt vmcnt(4)
	v_pk_mul_f32 v[4:5], v[6:7], v[4:5] op_sel_hi:[1,0]
	s_nop 0
	v_pk_fma_f32 v[8:9], v[18:19], v[6:7], v[4:5] op_sel:[0,0,1] op_sel_hi:[1,1,0]
	v_pk_fma_f32 v[4:5], v[18:19], v[6:7], v[4:5] op_sel:[0,0,1] op_sel_hi:[0,1,0] neg_lo:[1,0,0] neg_hi:[1,0,0]
	v_mov_b32_e32 v9, v5
	v_pk_add_f32 v[4:5], v[16:17], v[8:9] neg_lo:[0,1] neg_hi:[0,1]
	s_nop 0
	v_pk_fma_f32 v[6:7], v[16:17], 2.0, v[4:5] op_sel_hi:[1,0,1] neg_lo:[0,0,1] neg_hi:[0,0,1]
	global_store_dwordx2 v[0:1], v[6:7], off
	global_store_dwordx2 v[2:3], v[4:5], off
.LBB0_15:
	s_endpgm
	.section	.rodata,"a",@progbits
	.p2align	6, 0x0
	.amdhsa_kernel fft_rtc_back_len3072_factors_6_4_4_4_4_2_wgs_256_tpt_256_halfLds_sp_op_CI_CI_sbrr_dirReg
		.amdhsa_group_segment_fixed_size 0
		.amdhsa_private_segment_fixed_size 0
		.amdhsa_kernarg_size 104
		.amdhsa_user_sgpr_count 2
		.amdhsa_user_sgpr_dispatch_ptr 0
		.amdhsa_user_sgpr_queue_ptr 0
		.amdhsa_user_sgpr_kernarg_segment_ptr 1
		.amdhsa_user_sgpr_dispatch_id 0
		.amdhsa_user_sgpr_kernarg_preload_length 0
		.amdhsa_user_sgpr_kernarg_preload_offset 0
		.amdhsa_user_sgpr_private_segment_size 0
		.amdhsa_uses_dynamic_stack 0
		.amdhsa_enable_private_segment 0
		.amdhsa_system_sgpr_workgroup_id_x 1
		.amdhsa_system_sgpr_workgroup_id_y 0
		.amdhsa_system_sgpr_workgroup_id_z 0
		.amdhsa_system_sgpr_workgroup_info 0
		.amdhsa_system_vgpr_workitem_id 0
		.amdhsa_next_free_vgpr 72
		.amdhsa_next_free_sgpr 32
		.amdhsa_accum_offset 72
		.amdhsa_reserve_vcc 1
		.amdhsa_float_round_mode_32 0
		.amdhsa_float_round_mode_16_64 0
		.amdhsa_float_denorm_mode_32 3
		.amdhsa_float_denorm_mode_16_64 3
		.amdhsa_dx10_clamp 1
		.amdhsa_ieee_mode 1
		.amdhsa_fp16_overflow 0
		.amdhsa_tg_split 0
		.amdhsa_exception_fp_ieee_invalid_op 0
		.amdhsa_exception_fp_denorm_src 0
		.amdhsa_exception_fp_ieee_div_zero 0
		.amdhsa_exception_fp_ieee_overflow 0
		.amdhsa_exception_fp_ieee_underflow 0
		.amdhsa_exception_fp_ieee_inexact 0
		.amdhsa_exception_int_div_zero 0
	.end_amdhsa_kernel
	.text
.Lfunc_end0:
	.size	fft_rtc_back_len3072_factors_6_4_4_4_4_2_wgs_256_tpt_256_halfLds_sp_op_CI_CI_sbrr_dirReg, .Lfunc_end0-fft_rtc_back_len3072_factors_6_4_4_4_4_2_wgs_256_tpt_256_halfLds_sp_op_CI_CI_sbrr_dirReg
                                        ; -- End function
	.section	.AMDGPU.csdata,"",@progbits
; Kernel info:
; codeLenInByte = 8344
; NumSgprs: 38
; NumVgprs: 72
; NumAgprs: 0
; TotalNumVgprs: 72
; ScratchSize: 0
; MemoryBound: 0
; FloatMode: 240
; IeeeMode: 1
; LDSByteSize: 0 bytes/workgroup (compile time only)
; SGPRBlocks: 4
; VGPRBlocks: 8
; NumSGPRsForWavesPerEU: 38
; NumVGPRsForWavesPerEU: 72
; AccumOffset: 72
; Occupancy: 7
; WaveLimiterHint : 1
; COMPUTE_PGM_RSRC2:SCRATCH_EN: 0
; COMPUTE_PGM_RSRC2:USER_SGPR: 2
; COMPUTE_PGM_RSRC2:TRAP_HANDLER: 0
; COMPUTE_PGM_RSRC2:TGID_X_EN: 1
; COMPUTE_PGM_RSRC2:TGID_Y_EN: 0
; COMPUTE_PGM_RSRC2:TGID_Z_EN: 0
; COMPUTE_PGM_RSRC2:TIDIG_COMP_CNT: 0
; COMPUTE_PGM_RSRC3_GFX90A:ACCUM_OFFSET: 17
; COMPUTE_PGM_RSRC3_GFX90A:TG_SPLIT: 0
	.text
	.p2alignl 6, 3212836864
	.fill 256, 4, 3212836864
	.type	__hip_cuid_af57f119ff3d447a,@object ; @__hip_cuid_af57f119ff3d447a
	.section	.bss,"aw",@nobits
	.globl	__hip_cuid_af57f119ff3d447a
__hip_cuid_af57f119ff3d447a:
	.byte	0                               ; 0x0
	.size	__hip_cuid_af57f119ff3d447a, 1

	.ident	"AMD clang version 19.0.0git (https://github.com/RadeonOpenCompute/llvm-project roc-6.4.0 25133 c7fe45cf4b819c5991fe208aaa96edf142730f1d)"
	.section	".note.GNU-stack","",@progbits
	.addrsig
	.addrsig_sym __hip_cuid_af57f119ff3d447a
	.amdgpu_metadata
---
amdhsa.kernels:
  - .agpr_count:     0
    .args:
      - .actual_access:  read_only
        .address_space:  global
        .offset:         0
        .size:           8
        .value_kind:     global_buffer
      - .offset:         8
        .size:           8
        .value_kind:     by_value
      - .actual_access:  read_only
        .address_space:  global
        .offset:         16
        .size:           8
        .value_kind:     global_buffer
      - .actual_access:  read_only
        .address_space:  global
        .offset:         24
        .size:           8
        .value_kind:     global_buffer
      - .actual_access:  read_only
        .address_space:  global
        .offset:         32
        .size:           8
        .value_kind:     global_buffer
      - .offset:         40
        .size:           8
        .value_kind:     by_value
      - .actual_access:  read_only
        .address_space:  global
        .offset:         48
        .size:           8
        .value_kind:     global_buffer
      - .actual_access:  read_only
        .address_space:  global
        .offset:         56
        .size:           8
        .value_kind:     global_buffer
      - .offset:         64
        .size:           4
        .value_kind:     by_value
      - .actual_access:  read_only
        .address_space:  global
        .offset:         72
        .size:           8
        .value_kind:     global_buffer
      - .actual_access:  read_only
        .address_space:  global
        .offset:         80
        .size:           8
        .value_kind:     global_buffer
      - .actual_access:  read_only
        .address_space:  global
        .offset:         88
        .size:           8
        .value_kind:     global_buffer
      - .actual_access:  write_only
        .address_space:  global
        .offset:         96
        .size:           8
        .value_kind:     global_buffer
    .group_segment_fixed_size: 0
    .kernarg_segment_align: 8
    .kernarg_segment_size: 104
    .language:       OpenCL C
    .language_version:
      - 2
      - 0
    .max_flat_workgroup_size: 256
    .name:           fft_rtc_back_len3072_factors_6_4_4_4_4_2_wgs_256_tpt_256_halfLds_sp_op_CI_CI_sbrr_dirReg
    .private_segment_fixed_size: 0
    .sgpr_count:     38
    .sgpr_spill_count: 0
    .symbol:         fft_rtc_back_len3072_factors_6_4_4_4_4_2_wgs_256_tpt_256_halfLds_sp_op_CI_CI_sbrr_dirReg.kd
    .uniform_work_group_size: 1
    .uses_dynamic_stack: false
    .vgpr_count:     72
    .vgpr_spill_count: 0
    .wavefront_size: 64
amdhsa.target:   amdgcn-amd-amdhsa--gfx950
amdhsa.version:
  - 1
  - 2
...

	.end_amdgpu_metadata
